;; amdgpu-corpus repo=zjin-lcf/HeCBench kind=compiled arch=gfx906 opt=O3
	.amdgcn_target "amdgcn-amd-amdhsa--gfx906"
	.amdhsa_code_object_version 6
	.text
	.protected	_Z3lbmPKdPdPK15HIP_vector_typeIdLj4EEPS3_S5_S6_PKb7double8S9_S0_d ; -- Begin function _Z3lbmPKdPdPK15HIP_vector_typeIdLj4EEPS3_S5_S6_PKb7double8S9_S0_d
	.globl	_Z3lbmPKdPdPK15HIP_vector_typeIdLj4EEPS3_S5_S6_PKb7double8S9_S0_d
	.p2align	8
	.type	_Z3lbmPKdPdPK15HIP_vector_typeIdLj4EEPS3_S5_S6_PKb7double8S9_S0_d,@function
_Z3lbmPKdPdPK15HIP_vector_typeIdLj4EEPS3_S5_S6_PKb7double8S9_S0_d: ; @_Z3lbmPKdPdPK15HIP_vector_typeIdLj4EEPS3_S5_S6_PKb7double8S9_S0_d
; %bb.0:
	s_load_dword s0, s[4:5], 0xdc
	s_load_dwordx2 s[24:25], s[4:5], 0xd0
	s_waitcnt lgkmcnt(0)
	s_lshr_b32 s33, s0, 16
	s_and_b32 s0, s0, 0xffff
	s_mul_i32 s6, s6, s0
	s_mul_i32 s7, s7, s33
	v_add_u32_e32 v16, s6, v0
	v_add_u32_e32 v35, s7, v1
	s_mul_i32 s24, s24, s0
	v_mad_u64_u32 v[0:1], s[0:1], v35, s24, v[16:17]
	s_load_dwordx2 s[0:1], s[4:5], 0x30
	s_load_dwordx2 s[2:3], s[4:5], 0x0
	;; [unrolled: 1-line block ×4, first 2 shown]
	v_mov_b32_e32 v1, 0
	v_lshlrev_b64 v[17:18], 3, v[0:1]
	s_waitcnt lgkmcnt(0)
	global_load_ubyte v27, v0, s[0:1]
	v_mov_b32_e32 v2, s3
	v_lshlrev_b64 v[0:1], 5, v[0:1]
	v_add_co_u32_e32 v21, vcc, s2, v17
	v_addc_co_u32_e32 v22, vcc, v2, v18, vcc
	v_mov_b32_e32 v3, s7
	v_add_co_u32_e32 v23, vcc, s6, v0
	v_addc_co_u32_e32 v24, vcc, v3, v1, vcc
	v_mov_b32_e32 v4, s9
	v_add_co_u32_e32 v25, vcc, s8, v0
	v_addc_co_u32_e32 v26, vcc, v4, v1, vcc
	global_load_dwordx2 v[19:20], v[21:22], off
	global_load_dwordx4 v[12:15], v[23:24], off offset:16
	global_load_dwordx4 v[4:7], v[23:24], off
	global_load_dwordx4 v[0:3], v[25:26], off offset:16
	global_load_dwordx4 v[8:11], v[25:26], off
	s_load_dwordx16 s[36:51], s[4:5], 0x40
	s_load_dwordx16 s[8:23], s[4:5], 0x80
	s_waitcnt vmcnt(5)
	v_and_b32_e32 v21, 1, v27
	v_cmp_eq_u32_e32 vcc, 1, v21
	s_xor_b64 s[0:1], vcc, -1
	s_and_saveexec_b64 s[6:7], s[0:1]
	s_cbranch_execz .LBB0_2
; %bb.1:
	s_waitcnt vmcnt(0)
	v_add_f64 v[21:22], v[4:5], v[8:9]
	v_add_f64 v[23:24], v[6:7], v[10:11]
	s_waitcnt lgkmcnt(0)
	v_mul_f64 v[25:26], s[38:39], v[6:7]
	v_mul_f64 v[27:28], s[42:43], v[14:15]
	;; [unrolled: 1-line block ×3, first 2 shown]
	s_mov_b32 s26, 0
	s_mov_b32 s28, 0
	;; [unrolled: 1-line block ×3, first 2 shown]
	v_add_f64 v[21:22], v[19:20], v[21:22]
	s_mov_b32 s29, 0x40120000
	v_fma_f64 v[25:26], s[36:37], v[4:5], v[25:26]
	v_fma_f64 v[27:28], s[40:41], v[12:13], v[27:28]
	;; [unrolled: 1-line block ×3, first 2 shown]
	s_mov_b32 s30, 0
	s_mov_b32 s31, 0xbff80000
	v_add_f64 v[21:22], v[21:22], v[23:24]
	v_mul_f64 v[23:24], s[50:51], v[2:3]
	v_add_f64 v[25:26], v[25:26], v[27:28]
	v_add_f64 v[27:28], v[12:13], v[0:1]
	v_fma_f64 v[23:24], s[48:49], v[0:1], v[23:24]
	v_add_f64 v[21:22], v[21:22], v[27:28]
	v_add_f64 v[23:24], v[29:30], v[23:24]
	;; [unrolled: 1-line block ×5, first 2 shown]
	v_div_scale_f64 v[25:26], s[0:1], v[21:22], v[21:22], v[23:24]
	v_rcp_f64_e32 v[27:28], v[25:26]
	v_fma_f64 v[29:30], -v[25:26], v[27:28], 1.0
	v_fma_f64 v[27:28], v[27:28], v[29:30], v[27:28]
	v_fma_f64 v[29:30], -v[25:26], v[27:28], 1.0
	v_fma_f64 v[27:28], v[27:28], v[29:30], v[27:28]
	v_div_scale_f64 v[29:30], vcc, v[23:24], v[21:22], v[23:24]
	v_mul_f64 v[31:32], v[29:30], v[27:28]
	v_fma_f64 v[25:26], -v[25:26], v[31:32], v[29:30]
	v_mul_f64 v[29:30], s[14:15], v[14:15]
	s_nop 0
	v_div_fmas_f64 v[25:26], v[25:26], v[27:28], v[31:32]
	v_mul_f64 v[27:28], s[10:11], v[6:7]
	v_fma_f64 v[29:30], s[12:13], v[12:13], v[29:30]
	v_mul_f64 v[31:32], s[22:23], v[2:3]
	v_fma_f64 v[27:28], s[8:9], v[4:5], v[27:28]
	v_fma_f64 v[31:32], s[20:21], v[0:1], v[31:32]
	v_add_f64 v[27:28], v[27:28], v[29:30]
	v_mul_f64 v[29:30], s[18:19], v[10:11]
	v_fma_f64 v[29:30], s[16:17], v[8:9], v[29:30]
	v_add_f64 v[29:30], v[29:30], v[31:32]
	v_add_f64 v[27:28], v[27:28], v[29:30]
	v_div_scale_f64 v[29:30], s[0:1], v[21:22], v[21:22], v[27:28]
	s_load_dwordx4 s[0:3], s[4:5], 0xc0
	v_rcp_f64_e32 v[31:32], v[29:30]
	s_waitcnt lgkmcnt(0)
	s_load_dwordx16 s[52:67], s[0:1], 0x0
	v_fma_f64 v[33:34], -v[29:30], v[31:32], 1.0
	s_load_dwordx2 s[0:1], s[0:1], 0x40
	v_fma_f64 v[31:32], v[31:32], v[33:34], v[31:32]
	v_fma_f64 v[33:34], -v[29:30], v[31:32], 1.0
	v_fma_f64 v[31:32], v[31:32], v[33:34], v[31:32]
	v_div_scale_f64 v[33:34], vcc, v[27:28], v[21:22], v[27:28]
	v_mul_f64 v[36:37], v[33:34], v[31:32]
	v_fma_f64 v[29:30], -v[29:30], v[36:37], v[33:34]
	s_nop 1
	v_div_fmas_f64 v[29:30], v[29:30], v[31:32], v[36:37]
	v_div_fixup_f64 v[31:32], v[29:30], v[21:22], v[27:28]
	v_div_fixup_f64 v[29:30], v[25:26], v[21:22], v[23:24]
	v_mul_f64 v[23:24], s[8:9], v[31:32]
	v_fma_f64 v[23:24], s[36:37], v[29:30], v[23:24]
	v_fma_f64 v[25:26], v[23:24], s[26:27], 1.0
	v_mul_f64 v[27:28], v[23:24], s[28:29]
	v_fma_f64 v[23:24], v[23:24], v[27:28], v[25:26]
	v_mul_f64 v[25:26], s[10:11], v[31:32]
	v_fma_f64 v[25:26], s[38:39], v[29:30], v[25:26]
	v_fma_f64 v[27:28], v[25:26], s[26:27], 1.0
	v_mul_f64 v[33:34], v[25:26], s[28:29]
	v_fma_f64 v[25:26], v[25:26], v[33:34], v[27:28]
	;; [unrolled: 5-line block ×4, first 2 shown]
	v_mul_f64 v[27:28], v[31:32], v[31:32]
	v_fma_f64 v[33:34], v[29:30], v[29:30], v[27:28]
	s_waitcnt lgkmcnt(0)
	v_mul_f64 v[27:28], v[21:22], s[54:55]
	v_fma_f64 v[23:24], v[33:34], s[30:31], v[23:24]
	v_fma_f64 v[25:26], v[33:34], s[30:31], v[25:26]
	v_mul_f64 v[23:24], v[23:24], v[27:28]
	v_mul_f64 v[27:28], v[21:22], s[56:57]
	;; [unrolled: 1-line block ×4, first 2 shown]
	v_add_f64 v[27:28], -s[2:3], 1.0
	v_mul_f64 v[25:26], s[2:3], v[25:26]
	v_fma_f64 v[23:24], v[27:28], v[4:5], v[23:24]
	v_fma_f64 v[4:5], v[33:34], s[30:31], v[36:37]
	v_mul_f64 v[36:37], v[21:22], s[60:61]
	v_fma_f64 v[25:26], v[27:28], v[6:7], v[25:26]
	v_mul_f64 v[6:7], v[21:22], s[58:59]
	v_mul_f64 v[4:5], v[4:5], v[6:7]
	v_fma_f64 v[6:7], v[33:34], s[30:31], v[38:39]
	v_mul_f64 v[4:5], s[2:3], v[4:5]
	;; [unrolled: 3-line block ×3, first 2 shown]
	v_mul_f64 v[6:7], s[2:3], v[6:7]
	v_fma_f64 v[12:13], s[44:45], v[29:30], v[12:13]
	v_fma_f64 v[6:7], v[27:28], v[14:15], v[6:7]
	v_fma_f64 v[14:15], v[12:13], s[26:27], 1.0
	v_mul_f64 v[36:37], v[12:13], s[28:29]
	v_fma_f64 v[12:13], v[12:13], v[36:37], v[14:15]
	v_mul_f64 v[14:15], s[18:19], v[31:32]
	v_fma_f64 v[12:13], v[33:34], s[30:31], v[12:13]
	v_fma_f64 v[14:15], s[46:47], v[29:30], v[14:15]
	v_fma_f64 v[36:37], v[14:15], s[26:27], 1.0
	v_mul_f64 v[38:39], v[14:15], s[28:29]
	v_fma_f64 v[14:15], v[14:15], v[38:39], v[36:37]
	;; [unrolled: 6-line block ×3, first 2 shown]
	v_mul_f64 v[38:39], s[22:23], v[31:32]
	v_mul_f64 v[31:32], v[31:32], 0
	v_fma_f64 v[38:39], s[50:51], v[29:30], v[38:39]
	v_fma_f64 v[29:30], v[29:30], 0, v[31:32]
	v_fma_f64 v[40:41], v[38:39], s[26:27], 1.0
	v_mul_f64 v[42:43], v[38:39], s[28:29]
	v_fma_f64 v[31:32], v[29:30], s[26:27], 1.0
	v_fma_f64 v[38:39], v[38:39], v[42:43], v[40:41]
	v_mul_f64 v[40:41], v[29:30], s[28:29]
	v_fma_f64 v[29:30], v[29:30], v[40:41], v[31:32]
	v_mul_f64 v[31:32], v[21:22], s[62:63]
	;; [unrolled: 2-line block ×3, first 2 shown]
	v_mul_f64 v[31:32], v[21:22], s[64:65]
	v_mul_f64 v[12:13], s[2:3], v[12:13]
	;; [unrolled: 1-line block ×4, first 2 shown]
	v_fma_f64 v[12:13], v[27:28], v[8:9], v[12:13]
	v_mul_f64 v[14:15], s[2:3], v[14:15]
	v_fma_f64 v[8:9], v[33:34], s[30:31], v[36:37]
	v_fma_f64 v[14:15], v[27:28], v[10:11], v[14:15]
	;; [unrolled: 1-line block ×3, first 2 shown]
	v_mul_f64 v[8:9], v[8:9], v[31:32]
	v_mul_f64 v[31:32], v[21:22], s[0:1]
	;; [unrolled: 1-line block ×6, first 2 shown]
	v_fma_f64 v[8:9], v[27:28], v[0:1], v[8:9]
	v_mul_f64 v[10:11], s[2:3], v[10:11]
	v_mul_f64 v[21:22], s[2:3], v[21:22]
	v_mov_b32_e32 v0, v12
	v_mov_b32_e32 v1, v13
	;; [unrolled: 1-line block ×4, first 2 shown]
	v_fma_f64 v[10:11], v[27:28], v[2:3], v[10:11]
	v_fma_f64 v[19:20], v[27:28], v[19:20], v[21:22]
	v_mov_b32_e32 v2, v14
	v_mov_b32_e32 v3, v15
	;; [unrolled: 1-line block ×4, first 2 shown]
.LBB0_2:
	s_or_b64 exec, exec, s[6:7]
	s_mul_i32 s6, s25, s33
	s_add_i32 s0, s24, -1
	s_add_i32 s6, s6, -1
	v_cmp_gt_u32_e64 s[0:1], s0, v16
	v_cmp_gt_u32_e64 s[6:7], s6, v35
	v_cmp_ne_u32_e32 vcc, 0, v16
	s_and_b64 s[0:1], s[0:1], s[6:7]
	v_cmp_ne_u32_e64 s[2:3], 0, v35
	s_and_b64 s[0:1], vcc, s[0:1]
	s_and_b64 s[0:1], s[2:3], s[0:1]
	s_and_saveexec_b64 s[2:3], s[0:1]
	s_cbranch_execz .LBB0_4
; %bb.3:
	s_waitcnt lgkmcnt(0)
	v_cvt_i32_f64_e32 v23, s[8:9]
	v_cvt_i32_f64_e32 v25, s[10:11]
	;; [unrolled: 1-line block ×4, first 2 shown]
	v_add_u32_e32 v23, v35, v23
	v_add_u32_e32 v25, v35, v25
	v_cvt_i32_f64_e32 v31, s[16:17]
	v_cvt_i32_f64_e32 v21, s[36:37]
	v_cvt_i32_f64_e32 v22, s[38:39]
	v_mul_lo_u32 v23, v23, s24
	v_mul_lo_u32 v25, v25, s24
	v_add_u32_e32 v27, v35, v27
	v_add_u32_e32 v29, v35, v29
	;; [unrolled: 1-line block ×3, first 2 shown]
	v_cvt_i32_f64_e32 v24, s[40:41]
	v_cvt_i32_f64_e32 v26, s[42:43]
	;; [unrolled: 1-line block ×4, first 2 shown]
	v_mul_lo_u32 v27, v27, s24
	v_mul_lo_u32 v29, v29, s24
	v_add3_u32 v21, v16, v21, v23
	v_add3_u32 v23, v16, v22, v25
	v_mul_lo_u32 v22, v31, s24
	s_load_dwordx2 s[6:7], s[4:5], 0x8
	s_load_dwordx2 s[2:3], s[4:5], 0x18
	s_load_dwordx2 s[0:1], s[4:5], 0x28
	v_cvt_i32_f64_e32 v36, s[20:21]
	v_add_u32_e32 v33, v35, v33
	v_add3_u32 v25, v16, v24, v27
	v_add3_u32 v27, v16, v26, v29
	v_add3_u32 v29, v16, v28, v22
	s_waitcnt lgkmcnt(0)
	v_mov_b32_e32 v22, s7
	v_add_co_u32_e32 v17, vcc, s6, v17
	v_cvt_i32_f64_e32 v30, s[46:47]
	v_mul_lo_u32 v24, v33, s24
	v_addc_co_u32_e32 v18, vcc, v22, v18, vcc
	v_ashrrev_i32_e32 v22, 31, v21
	s_waitcnt vmcnt(4)
	global_store_dwordx2 v[17:18], v[19:20], off
	v_lshlrev_b64 v[17:18], 5, v[21:22]
	v_add_u32_e32 v36, v35, v36
	v_mov_b32_e32 v19, s3
	v_add_co_u32_e32 v17, vcc, s2, v17
	v_cvt_i32_f64_e32 v32, s[48:49]
	v_mul_lo_u32 v26, v36, s24
	v_add3_u32 v31, v16, v30, v24
	v_addc_co_u32_e32 v18, vcc, v19, v18, vcc
	v_ashrrev_i32_e32 v24, 31, v23
	s_waitcnt vmcnt(4)
	global_store_dwordx2 v[17:18], v[12:13], off
	v_lshlrev_b64 v[12:13], 5, v[23:24]
	v_mov_b32_e32 v17, s3
	v_add_co_u32_e32 v12, vcc, s2, v12
	v_add3_u32 v33, v16, v32, v26
	v_addc_co_u32_e32 v13, vcc, v17, v13, vcc
	v_ashrrev_i32_e32 v26, 31, v25
	global_store_dwordx2 v[12:13], v[14:15], off offset:8
	v_lshlrev_b64 v[12:13], 5, v[25:26]
	v_mov_b32_e32 v14, s3
	v_add_co_u32_e32 v12, vcc, s2, v12
	v_addc_co_u32_e32 v13, vcc, v14, v13, vcc
	v_ashrrev_i32_e32 v28, 31, v27
	s_waitcnt vmcnt(5)
	global_store_dwordx2 v[12:13], v[4:5], off offset:16
	v_lshlrev_b64 v[4:5], 5, v[27:28]
	v_cvt_i32_f64_e32 v37, s[22:23]
	v_mov_b32_e32 v12, s3
	v_add_co_u32_e32 v4, vcc, s2, v4
	v_addc_co_u32_e32 v5, vcc, v12, v5, vcc
	v_ashrrev_i32_e32 v30, 31, v29
	global_store_dwordx2 v[4:5], v[6:7], off offset:24
	v_lshlrev_b64 v[4:5], 5, v[29:30]
	v_add_u32_e32 v35, v35, v37
	v_mov_b32_e32 v6, s1
	v_add_co_u32_e32 v4, vcc, s0, v4
	v_cvt_i32_f64_e32 v34, s[50:51]
	v_mul_lo_u32 v35, v35, s24
	v_addc_co_u32_e32 v5, vcc, v6, v5, vcc
	v_ashrrev_i32_e32 v32, 31, v31
	s_waitcnt vmcnt(6)
	global_store_dwordx2 v[4:5], v[0:1], off
	v_lshlrev_b64 v[0:1], 5, v[31:32]
	v_mov_b32_e32 v4, s1
	v_add_co_u32_e32 v0, vcc, s0, v0
	v_add3_u32 v16, v16, v34, v35
	v_addc_co_u32_e32 v1, vcc, v4, v1, vcc
	v_ashrrev_i32_e32 v34, 31, v33
	global_store_dwordx2 v[0:1], v[2:3], off offset:8
	v_lshlrev_b64 v[0:1], 5, v[33:34]
	v_mov_b32_e32 v2, s1
	v_add_co_u32_e32 v0, vcc, s0, v0
	v_addc_co_u32_e32 v1, vcc, v2, v1, vcc
	v_ashrrev_i32_e32 v17, 31, v16
	s_waitcnt vmcnt(7)
	global_store_dwordx2 v[0:1], v[8:9], off offset:16
	v_lshlrev_b64 v[0:1], 5, v[16:17]
	v_add_co_u32_e32 v0, vcc, s0, v0
	v_addc_co_u32_e32 v1, vcc, v2, v1, vcc
	global_store_dwordx2 v[0:1], v[10:11], off offset:24
.LBB0_4:
	s_endpgm
	.section	.rodata,"a",@progbits
	.p2align	6, 0x0
	.amdhsa_kernel _Z3lbmPKdPdPK15HIP_vector_typeIdLj4EEPS3_S5_S6_PKb7double8S9_S0_d
		.amdhsa_group_segment_fixed_size 0
		.amdhsa_private_segment_fixed_size 0
		.amdhsa_kernarg_size 464
		.amdhsa_user_sgpr_count 6
		.amdhsa_user_sgpr_private_segment_buffer 1
		.amdhsa_user_sgpr_dispatch_ptr 0
		.amdhsa_user_sgpr_queue_ptr 0
		.amdhsa_user_sgpr_kernarg_segment_ptr 1
		.amdhsa_user_sgpr_dispatch_id 0
		.amdhsa_user_sgpr_flat_scratch_init 0
		.amdhsa_user_sgpr_private_segment_size 0
		.amdhsa_uses_dynamic_stack 0
		.amdhsa_system_sgpr_private_segment_wavefront_offset 0
		.amdhsa_system_sgpr_workgroup_id_x 1
		.amdhsa_system_sgpr_workgroup_id_y 1
		.amdhsa_system_sgpr_workgroup_id_z 0
		.amdhsa_system_sgpr_workgroup_info 0
		.amdhsa_system_vgpr_workitem_id 1
		.amdhsa_next_free_vgpr 44
		.amdhsa_next_free_sgpr 68
		.amdhsa_reserve_vcc 1
		.amdhsa_reserve_flat_scratch 0
		.amdhsa_float_round_mode_32 0
		.amdhsa_float_round_mode_16_64 0
		.amdhsa_float_denorm_mode_32 3
		.amdhsa_float_denorm_mode_16_64 3
		.amdhsa_dx10_clamp 1
		.amdhsa_ieee_mode 1
		.amdhsa_fp16_overflow 0
		.amdhsa_exception_fp_ieee_invalid_op 0
		.amdhsa_exception_fp_denorm_src 0
		.amdhsa_exception_fp_ieee_div_zero 0
		.amdhsa_exception_fp_ieee_overflow 0
		.amdhsa_exception_fp_ieee_underflow 0
		.amdhsa_exception_fp_ieee_inexact 0
		.amdhsa_exception_int_div_zero 0
	.end_amdhsa_kernel
	.text
.Lfunc_end0:
	.size	_Z3lbmPKdPdPK15HIP_vector_typeIdLj4EEPS3_S5_S6_PKb7double8S9_S0_d, .Lfunc_end0-_Z3lbmPKdPdPK15HIP_vector_typeIdLj4EEPS3_S5_S6_PKb7double8S9_S0_d
                                        ; -- End function
	.set _Z3lbmPKdPdPK15HIP_vector_typeIdLj4EEPS3_S5_S6_PKb7double8S9_S0_d.num_vgpr, 44
	.set _Z3lbmPKdPdPK15HIP_vector_typeIdLj4EEPS3_S5_S6_PKb7double8S9_S0_d.num_agpr, 0
	.set _Z3lbmPKdPdPK15HIP_vector_typeIdLj4EEPS3_S5_S6_PKb7double8S9_S0_d.numbered_sgpr, 68
	.set _Z3lbmPKdPdPK15HIP_vector_typeIdLj4EEPS3_S5_S6_PKb7double8S9_S0_d.num_named_barrier, 0
	.set _Z3lbmPKdPdPK15HIP_vector_typeIdLj4EEPS3_S5_S6_PKb7double8S9_S0_d.private_seg_size, 0
	.set _Z3lbmPKdPdPK15HIP_vector_typeIdLj4EEPS3_S5_S6_PKb7double8S9_S0_d.uses_vcc, 1
	.set _Z3lbmPKdPdPK15HIP_vector_typeIdLj4EEPS3_S5_S6_PKb7double8S9_S0_d.uses_flat_scratch, 0
	.set _Z3lbmPKdPdPK15HIP_vector_typeIdLj4EEPS3_S5_S6_PKb7double8S9_S0_d.has_dyn_sized_stack, 0
	.set _Z3lbmPKdPdPK15HIP_vector_typeIdLj4EEPS3_S5_S6_PKb7double8S9_S0_d.has_recursion, 0
	.set _Z3lbmPKdPdPK15HIP_vector_typeIdLj4EEPS3_S5_S6_PKb7double8S9_S0_d.has_indirect_call, 0
	.section	.AMDGPU.csdata,"",@progbits
; Kernel info:
; codeLenInByte = 2124
; TotalNumSgprs: 72
; NumVgprs: 44
; ScratchSize: 0
; MemoryBound: 0
; FloatMode: 240
; IeeeMode: 1
; LDSByteSize: 0 bytes/workgroup (compile time only)
; SGPRBlocks: 8
; VGPRBlocks: 10
; NumSGPRsForWavesPerEU: 72
; NumVGPRsForWavesPerEU: 44
; Occupancy: 5
; WaveLimiterHint : 0
; COMPUTE_PGM_RSRC2:SCRATCH_EN: 0
; COMPUTE_PGM_RSRC2:USER_SGPR: 6
; COMPUTE_PGM_RSRC2:TRAP_HANDLER: 0
; COMPUTE_PGM_RSRC2:TGID_X_EN: 1
; COMPUTE_PGM_RSRC2:TGID_Y_EN: 1
; COMPUTE_PGM_RSRC2:TGID_Z_EN: 0
; COMPUTE_PGM_RSRC2:TIDIG_COMP_CNT: 1
	.section	.AMDGPU.gpr_maximums,"",@progbits
	.set amdgpu.max_num_vgpr, 0
	.set amdgpu.max_num_agpr, 0
	.set amdgpu.max_num_sgpr, 0
	.section	.AMDGPU.csdata,"",@progbits
	.type	__hip_cuid_1fcda2e7d6fbfd5c,@object ; @__hip_cuid_1fcda2e7d6fbfd5c
	.section	.bss,"aw",@nobits
	.globl	__hip_cuid_1fcda2e7d6fbfd5c
__hip_cuid_1fcda2e7d6fbfd5c:
	.byte	0                               ; 0x0
	.size	__hip_cuid_1fcda2e7d6fbfd5c, 1

	.ident	"AMD clang version 22.0.0git (https://github.com/RadeonOpenCompute/llvm-project roc-7.2.4 26084 f58b06dce1f9c15707c5f808fd002e18c2accf7e)"
	.section	".note.GNU-stack","",@progbits
	.addrsig
	.addrsig_sym __hip_cuid_1fcda2e7d6fbfd5c
	.amdgpu_metadata
---
amdhsa.kernels:
  - .args:
      - .actual_access:  read_only
        .address_space:  global
        .offset:         0
        .size:           8
        .value_kind:     global_buffer
      - .actual_access:  write_only
        .address_space:  global
        .offset:         8
        .size:           8
        .value_kind:     global_buffer
      - .actual_access:  read_only
        .address_space:  global
        .offset:         16
        .size:           8
        .value_kind:     global_buffer
      - .actual_access:  write_only
        .address_space:  global
        .offset:         24
        .size:           8
        .value_kind:     global_buffer
      - .actual_access:  read_only
        .address_space:  global
        .offset:         32
        .size:           8
        .value_kind:     global_buffer
      - .actual_access:  write_only
        .address_space:  global
        .offset:         40
        .size:           8
        .value_kind:     global_buffer
      - .actual_access:  read_only
        .address_space:  global
        .offset:         48
        .size:           8
        .value_kind:     global_buffer
      - .offset:         64
        .size:           64
        .value_kind:     by_value
      - .offset:         128
        .size:           64
        .value_kind:     by_value
      - .actual_access:  read_only
        .address_space:  global
        .offset:         192
        .size:           8
        .value_kind:     global_buffer
      - .offset:         200
        .size:           8
        .value_kind:     by_value
      - .offset:         208
        .size:           4
        .value_kind:     hidden_block_count_x
      - .offset:         212
        .size:           4
        .value_kind:     hidden_block_count_y
      - .offset:         216
        .size:           4
        .value_kind:     hidden_block_count_z
      - .offset:         220
        .size:           2
        .value_kind:     hidden_group_size_x
      - .offset:         222
        .size:           2
        .value_kind:     hidden_group_size_y
      - .offset:         224
        .size:           2
        .value_kind:     hidden_group_size_z
      - .offset:         226
        .size:           2
        .value_kind:     hidden_remainder_x
      - .offset:         228
        .size:           2
        .value_kind:     hidden_remainder_y
      - .offset:         230
        .size:           2
        .value_kind:     hidden_remainder_z
      - .offset:         248
        .size:           8
        .value_kind:     hidden_global_offset_x
      - .offset:         256
        .size:           8
        .value_kind:     hidden_global_offset_y
      - .offset:         264
        .size:           8
        .value_kind:     hidden_global_offset_z
      - .offset:         272
        .size:           2
        .value_kind:     hidden_grid_dims
    .group_segment_fixed_size: 0
    .kernarg_segment_align: 64
    .kernarg_segment_size: 464
    .language:       OpenCL C
    .language_version:
      - 2
      - 0
    .max_flat_workgroup_size: 1024
    .name:           _Z3lbmPKdPdPK15HIP_vector_typeIdLj4EEPS3_S5_S6_PKb7double8S9_S0_d
    .private_segment_fixed_size: 0
    .sgpr_count:     72
    .sgpr_spill_count: 0
    .symbol:         _Z3lbmPKdPdPK15HIP_vector_typeIdLj4EEPS3_S5_S6_PKb7double8S9_S0_d.kd
    .uniform_work_group_size: 1
    .uses_dynamic_stack: false
    .vgpr_count:     44
    .vgpr_spill_count: 0
    .wavefront_size: 64
amdhsa.target:   amdgcn-amd-amdhsa--gfx906
amdhsa.version:
  - 1
  - 2
...

	.end_amdgpu_metadata
